;; amdgpu-corpus repo=ROCm/rocFFT kind=compiled arch=gfx1201 opt=O3
	.text
	.amdgcn_target "amdgcn-amd-amdhsa--gfx1201"
	.amdhsa_code_object_version 6
	.protected	fft_rtc_fwd_len220_factors_10_2_11_wgs_110_tpt_22_half_op_CI_CI_unitstride_sbrr_dirReg ; -- Begin function fft_rtc_fwd_len220_factors_10_2_11_wgs_110_tpt_22_half_op_CI_CI_unitstride_sbrr_dirReg
	.globl	fft_rtc_fwd_len220_factors_10_2_11_wgs_110_tpt_22_half_op_CI_CI_unitstride_sbrr_dirReg
	.p2align	8
	.type	fft_rtc_fwd_len220_factors_10_2_11_wgs_110_tpt_22_half_op_CI_CI_unitstride_sbrr_dirReg,@function
fft_rtc_fwd_len220_factors_10_2_11_wgs_110_tpt_22_half_op_CI_CI_unitstride_sbrr_dirReg: ; @fft_rtc_fwd_len220_factors_10_2_11_wgs_110_tpt_22_half_op_CI_CI_unitstride_sbrr_dirReg
; %bb.0:
	s_load_b128 s[8:11], s[0:1], 0x0
	v_mul_u32_u24_e32 v1, 0xba3, v0
	s_clause 0x1
	s_load_b128 s[4:7], s[0:1], 0x58
	s_load_b128 s[12:15], s[0:1], 0x18
	v_dual_mov_b32 v3, 0 :: v_dual_mov_b32 v8, 0
	v_lshrrev_b32_e32 v1, 16, v1
	s_delay_alu instid0(VALU_DEP_1) | instskip(NEXT) | instid1(VALU_DEP_3)
	v_mad_co_u64_u32 v[6:7], null, ttmp9, 5, v[1:2]
	v_mov_b32_e32 v7, v3
	s_delay_alu instid0(VALU_DEP_2) | instskip(SKIP_2) | instid1(VALU_DEP_2)
	v_dual_mov_b32 v9, 0 :: v_dual_mov_b32 v4, v6
	s_wait_kmcnt 0x0
	v_cmp_lt_u64_e64 s2, s[10:11], 2
	v_dual_mov_b32 v1, v8 :: v_dual_mov_b32 v2, v9
	v_mov_b32_e32 v5, v7
	s_delay_alu instid0(VALU_DEP_3)
	s_and_b32 vcc_lo, exec_lo, s2
	s_cbranch_vccnz .LBB0_8
; %bb.1:
	s_load_b64 s[2:3], s[0:1], 0x10
	v_dual_mov_b32 v8, 0 :: v_dual_mov_b32 v11, v7
	v_dual_mov_b32 v9, 0 :: v_dual_mov_b32 v10, v6
	s_delay_alu instid0(VALU_DEP_2) | instskip(SKIP_2) | instid1(VALU_DEP_2)
	v_mov_b32_e32 v1, v8
	s_add_nc_u64 s[16:17], s[14:15], 8
	s_add_nc_u64 s[18:19], s[12:13], 8
	v_mov_b32_e32 v2, v9
	s_mov_b64 s[20:21], 1
	s_wait_kmcnt 0x0
	s_add_nc_u64 s[22:23], s[2:3], 8
	s_mov_b32 s3, 0
.LBB0_2:                                ; =>This Inner Loop Header: Depth=1
	s_load_b64 s[24:25], s[22:23], 0x0
	s_wait_kmcnt 0x0
	s_delay_alu instid0(VALU_DEP_1) | instskip(NEXT) | instid1(VALU_DEP_1)
	v_or_b32_e32 v4, s25, v11
	v_cmp_ne_u64_e32 vcc_lo, 0, v[3:4]
                                        ; implicit-def: $vgpr4_vgpr5
	s_and_saveexec_b32 s2, vcc_lo
	s_wait_alu 0xfffe
	s_xor_b32 s26, exec_lo, s2
	s_cbranch_execz .LBB0_4
; %bb.3:                                ;   in Loop: Header=BB0_2 Depth=1
	s_cvt_f32_u32 s2, s24
	s_cvt_f32_u32 s27, s25
	s_sub_nc_u64 s[30:31], 0, s[24:25]
	s_wait_alu 0xfffe
	s_delay_alu instid0(SALU_CYCLE_1) | instskip(SKIP_1) | instid1(SALU_CYCLE_2)
	s_fmamk_f32 s2, s27, 0x4f800000, s2
	s_wait_alu 0xfffe
	v_s_rcp_f32 s2, s2
	s_delay_alu instid0(TRANS32_DEP_1) | instskip(SKIP_1) | instid1(SALU_CYCLE_2)
	s_mul_f32 s2, s2, 0x5f7ffffc
	s_wait_alu 0xfffe
	s_mul_f32 s27, s2, 0x2f800000
	s_wait_alu 0xfffe
	s_delay_alu instid0(SALU_CYCLE_2) | instskip(SKIP_1) | instid1(SALU_CYCLE_2)
	s_trunc_f32 s27, s27
	s_wait_alu 0xfffe
	s_fmamk_f32 s2, s27, 0xcf800000, s2
	s_cvt_u32_f32 s29, s27
	s_wait_alu 0xfffe
	s_delay_alu instid0(SALU_CYCLE_1) | instskip(SKIP_1) | instid1(SALU_CYCLE_2)
	s_cvt_u32_f32 s28, s2
	s_wait_alu 0xfffe
	s_mul_u64 s[34:35], s[30:31], s[28:29]
	s_wait_alu 0xfffe
	s_mul_hi_u32 s37, s28, s35
	s_mul_i32 s36, s28, s35
	s_mul_hi_u32 s2, s28, s34
	s_mul_i32 s33, s29, s34
	s_wait_alu 0xfffe
	s_add_nc_u64 s[36:37], s[2:3], s[36:37]
	s_mul_hi_u32 s27, s29, s34
	s_mul_hi_u32 s38, s29, s35
	s_add_co_u32 s2, s36, s33
	s_wait_alu 0xfffe
	s_add_co_ci_u32 s2, s37, s27
	s_mul_i32 s34, s29, s35
	s_add_co_ci_u32 s35, s38, 0
	s_wait_alu 0xfffe
	s_add_nc_u64 s[34:35], s[2:3], s[34:35]
	s_wait_alu 0xfffe
	v_add_co_u32 v4, s2, s28, s34
	s_delay_alu instid0(VALU_DEP_1) | instskip(SKIP_1) | instid1(VALU_DEP_1)
	s_cmp_lg_u32 s2, 0
	s_add_co_ci_u32 s29, s29, s35
	v_readfirstlane_b32 s28, v4
	s_wait_alu 0xfffe
	s_delay_alu instid0(VALU_DEP_1)
	s_mul_u64 s[30:31], s[30:31], s[28:29]
	s_wait_alu 0xfffe
	s_mul_hi_u32 s35, s28, s31
	s_mul_i32 s34, s28, s31
	s_mul_hi_u32 s2, s28, s30
	s_mul_i32 s33, s29, s30
	s_wait_alu 0xfffe
	s_add_nc_u64 s[34:35], s[2:3], s[34:35]
	s_mul_hi_u32 s27, s29, s30
	s_mul_hi_u32 s28, s29, s31
	s_wait_alu 0xfffe
	s_add_co_u32 s2, s34, s33
	s_add_co_ci_u32 s2, s35, s27
	s_mul_i32 s30, s29, s31
	s_add_co_ci_u32 s31, s28, 0
	s_wait_alu 0xfffe
	s_add_nc_u64 s[30:31], s[2:3], s[30:31]
	s_wait_alu 0xfffe
	v_add_co_u32 v7, s2, v4, s30
	s_delay_alu instid0(VALU_DEP_1) | instskip(SKIP_1) | instid1(VALU_DEP_1)
	s_cmp_lg_u32 s2, 0
	s_add_co_ci_u32 s2, s29, s31
	v_mul_hi_u32 v16, v10, v7
	s_wait_alu 0xfffe
	v_mad_co_u64_u32 v[4:5], null, v10, s2, 0
	v_mad_co_u64_u32 v[12:13], null, v11, v7, 0
	;; [unrolled: 1-line block ×3, first 2 shown]
	s_delay_alu instid0(VALU_DEP_3) | instskip(SKIP_1) | instid1(VALU_DEP_4)
	v_add_co_u32 v4, vcc_lo, v16, v4
	s_wait_alu 0xfffd
	v_add_co_ci_u32_e32 v5, vcc_lo, 0, v5, vcc_lo
	s_delay_alu instid0(VALU_DEP_2) | instskip(SKIP_1) | instid1(VALU_DEP_2)
	v_add_co_u32 v4, vcc_lo, v4, v12
	s_wait_alu 0xfffd
	v_add_co_ci_u32_e32 v4, vcc_lo, v5, v13, vcc_lo
	s_wait_alu 0xfffd
	v_add_co_ci_u32_e32 v5, vcc_lo, 0, v15, vcc_lo
	s_delay_alu instid0(VALU_DEP_2) | instskip(SKIP_1) | instid1(VALU_DEP_2)
	v_add_co_u32 v7, vcc_lo, v4, v14
	s_wait_alu 0xfffd
	v_add_co_ci_u32_e32 v12, vcc_lo, 0, v5, vcc_lo
	s_delay_alu instid0(VALU_DEP_2) | instskip(SKIP_1) | instid1(VALU_DEP_3)
	v_mul_lo_u32 v13, s25, v7
	v_mad_co_u64_u32 v[4:5], null, s24, v7, 0
	v_mul_lo_u32 v14, s24, v12
	s_delay_alu instid0(VALU_DEP_2) | instskip(NEXT) | instid1(VALU_DEP_2)
	v_sub_co_u32 v4, vcc_lo, v10, v4
	v_add3_u32 v5, v5, v14, v13
	s_delay_alu instid0(VALU_DEP_1) | instskip(SKIP_1) | instid1(VALU_DEP_1)
	v_sub_nc_u32_e32 v13, v11, v5
	s_wait_alu 0xfffd
	v_subrev_co_ci_u32_e64 v13, s2, s25, v13, vcc_lo
	v_add_co_u32 v14, s2, v7, 2
	s_wait_alu 0xf1ff
	v_add_co_ci_u32_e64 v15, s2, 0, v12, s2
	v_sub_co_u32 v16, s2, v4, s24
	v_sub_co_ci_u32_e32 v5, vcc_lo, v11, v5, vcc_lo
	s_wait_alu 0xf1ff
	v_subrev_co_ci_u32_e64 v13, s2, 0, v13, s2
	s_delay_alu instid0(VALU_DEP_3) | instskip(NEXT) | instid1(VALU_DEP_3)
	v_cmp_le_u32_e32 vcc_lo, s24, v16
	v_cmp_eq_u32_e64 s2, s25, v5
	s_wait_alu 0xfffd
	v_cndmask_b32_e64 v16, 0, -1, vcc_lo
	v_cmp_le_u32_e32 vcc_lo, s25, v13
	s_wait_alu 0xfffd
	v_cndmask_b32_e64 v17, 0, -1, vcc_lo
	v_cmp_le_u32_e32 vcc_lo, s24, v4
	;; [unrolled: 3-line block ×3, first 2 shown]
	s_wait_alu 0xfffd
	v_cndmask_b32_e64 v18, 0, -1, vcc_lo
	v_cmp_eq_u32_e32 vcc_lo, s25, v13
	s_wait_alu 0xf1ff
	s_delay_alu instid0(VALU_DEP_2)
	v_cndmask_b32_e64 v4, v18, v4, s2
	s_wait_alu 0xfffd
	v_cndmask_b32_e32 v13, v17, v16, vcc_lo
	v_add_co_u32 v16, vcc_lo, v7, 1
	s_wait_alu 0xfffd
	v_add_co_ci_u32_e32 v17, vcc_lo, 0, v12, vcc_lo
	s_delay_alu instid0(VALU_DEP_3) | instskip(SKIP_2) | instid1(VALU_DEP_3)
	v_cmp_ne_u32_e32 vcc_lo, 0, v13
	s_wait_alu 0xfffd
	v_cndmask_b32_e32 v13, v16, v14, vcc_lo
	v_cndmask_b32_e32 v5, v17, v15, vcc_lo
	v_cmp_ne_u32_e32 vcc_lo, 0, v4
	s_wait_alu 0xfffd
	s_delay_alu instid0(VALU_DEP_3) | instskip(NEXT) | instid1(VALU_DEP_3)
	v_cndmask_b32_e32 v4, v7, v13, vcc_lo
	v_cndmask_b32_e32 v5, v12, v5, vcc_lo
.LBB0_4:                                ;   in Loop: Header=BB0_2 Depth=1
	s_wait_alu 0xfffe
	s_and_not1_saveexec_b32 s2, s26
	s_cbranch_execz .LBB0_6
; %bb.5:                                ;   in Loop: Header=BB0_2 Depth=1
	v_cvt_f32_u32_e32 v4, s24
	s_sub_co_i32 s26, 0, s24
	s_delay_alu instid0(VALU_DEP_1) | instskip(NEXT) | instid1(TRANS32_DEP_1)
	v_rcp_iflag_f32_e32 v4, v4
	v_mul_f32_e32 v4, 0x4f7ffffe, v4
	s_delay_alu instid0(VALU_DEP_1) | instskip(SKIP_1) | instid1(VALU_DEP_1)
	v_cvt_u32_f32_e32 v4, v4
	s_wait_alu 0xfffe
	v_mul_lo_u32 v5, s26, v4
	s_delay_alu instid0(VALU_DEP_1) | instskip(NEXT) | instid1(VALU_DEP_1)
	v_mul_hi_u32 v5, v4, v5
	v_add_nc_u32_e32 v4, v4, v5
	s_delay_alu instid0(VALU_DEP_1) | instskip(NEXT) | instid1(VALU_DEP_1)
	v_mul_hi_u32 v4, v10, v4
	v_mul_lo_u32 v5, v4, s24
	v_add_nc_u32_e32 v7, 1, v4
	s_delay_alu instid0(VALU_DEP_2) | instskip(NEXT) | instid1(VALU_DEP_1)
	v_sub_nc_u32_e32 v5, v10, v5
	v_subrev_nc_u32_e32 v12, s24, v5
	v_cmp_le_u32_e32 vcc_lo, s24, v5
	s_wait_alu 0xfffd
	s_delay_alu instid0(VALU_DEP_2) | instskip(NEXT) | instid1(VALU_DEP_1)
	v_dual_cndmask_b32 v5, v5, v12 :: v_dual_cndmask_b32 v4, v4, v7
	v_cmp_le_u32_e32 vcc_lo, s24, v5
	s_delay_alu instid0(VALU_DEP_2) | instskip(SKIP_1) | instid1(VALU_DEP_1)
	v_add_nc_u32_e32 v7, 1, v4
	s_wait_alu 0xfffd
	v_dual_mov_b32 v5, v3 :: v_dual_cndmask_b32 v4, v4, v7
.LBB0_6:                                ;   in Loop: Header=BB0_2 Depth=1
	s_wait_alu 0xfffe
	s_or_b32 exec_lo, exec_lo, s2
	s_delay_alu instid0(VALU_DEP_1) | instskip(NEXT) | instid1(VALU_DEP_2)
	v_mul_lo_u32 v7, v5, s24
	v_mul_lo_u32 v14, v4, s25
	s_load_b64 s[26:27], s[18:19], 0x0
	v_mad_co_u64_u32 v[12:13], null, v4, s24, 0
	s_load_b64 s[24:25], s[16:17], 0x0
	s_add_nc_u64 s[20:21], s[20:21], 1
	s_add_nc_u64 s[16:17], s[16:17], 8
	s_wait_alu 0xfffe
	v_cmp_ge_u64_e64 s2, s[20:21], s[10:11]
	s_add_nc_u64 s[18:19], s[18:19], 8
	s_add_nc_u64 s[22:23], s[22:23], 8
	v_add3_u32 v7, v13, v14, v7
	v_sub_co_u32 v10, vcc_lo, v10, v12
	s_wait_alu 0xfffd
	s_delay_alu instid0(VALU_DEP_2) | instskip(SKIP_2) | instid1(VALU_DEP_1)
	v_sub_co_ci_u32_e32 v7, vcc_lo, v11, v7, vcc_lo
	s_and_b32 vcc_lo, exec_lo, s2
	s_wait_kmcnt 0x0
	v_mul_lo_u32 v11, s26, v7
	v_mul_lo_u32 v12, s27, v10
	v_mad_co_u64_u32 v[8:9], null, s26, v10, v[8:9]
	v_mul_lo_u32 v7, s24, v7
	v_mul_lo_u32 v13, s25, v10
	v_mad_co_u64_u32 v[1:2], null, s24, v10, v[1:2]
	s_delay_alu instid0(VALU_DEP_4) | instskip(NEXT) | instid1(VALU_DEP_2)
	v_add3_u32 v9, v12, v9, v11
	v_add3_u32 v2, v13, v2, v7
	s_wait_alu 0xfffe
	s_cbranch_vccnz .LBB0_8
; %bb.7:                                ;   in Loop: Header=BB0_2 Depth=1
	v_dual_mov_b32 v11, v5 :: v_dual_mov_b32 v10, v4
	s_branch .LBB0_2
.LBB0_8:
	s_load_b64 s[0:1], s[0:1], 0x28
	v_mul_hi_u32 v19, 0xba2e8bb, v0
	s_lshl_b64 s[10:11], s[10:11], 3
                                        ; implicit-def: $vgpr3
	s_wait_kmcnt 0x0
	v_cmp_gt_u64_e32 vcc_lo, s[0:1], v[4:5]
	v_cmp_le_u64_e64 s0, s[0:1], v[4:5]
	s_delay_alu instid0(VALU_DEP_1)
	s_and_saveexec_b32 s1, s0
	s_wait_alu 0xfffe
	s_xor_b32 s0, exec_lo, s1
; %bb.9:
	v_mul_u32_u24_e32 v3, 22, v19
                                        ; implicit-def: $vgpr19
                                        ; implicit-def: $vgpr8_vgpr9
	s_delay_alu instid0(VALU_DEP_1)
	v_sub_nc_u32_e32 v3, v0, v3
                                        ; implicit-def: $vgpr0
; %bb.10:
	s_wait_alu 0xfffe
	s_or_saveexec_b32 s1, s0
	s_add_nc_u64 s[2:3], s[14:15], s[10:11]
                                        ; implicit-def: $vgpr18
                                        ; implicit-def: $vgpr17
                                        ; implicit-def: $vgpr12
                                        ; implicit-def: $vgpr10
                                        ; implicit-def: $vgpr7
                                        ; implicit-def: $vgpr16
                                        ; implicit-def: $vgpr15
                                        ; implicit-def: $vgpr14
                                        ; implicit-def: $vgpr13
                                        ; implicit-def: $vgpr11
	s_wait_alu 0xfffe
	s_xor_b32 exec_lo, exec_lo, s1
	s_cbranch_execz .LBB0_12
; %bb.11:
	s_add_nc_u64 s[10:11], s[12:13], s[10:11]
	s_load_b64 s[10:11], s[10:11], 0x0
	s_wait_kmcnt 0x0
	v_mul_lo_u32 v3, s11, v4
	v_mul_lo_u32 v7, s10, v5
	v_mad_co_u64_u32 v[10:11], null, s10, v4, 0
	s_delay_alu instid0(VALU_DEP_1) | instskip(SKIP_2) | instid1(VALU_DEP_3)
	v_add3_u32 v11, v11, v7, v3
	v_mul_u32_u24_e32 v3, 22, v19
	v_lshlrev_b64_e32 v[7:8], 2, v[8:9]
	v_lshlrev_b64_e32 v[10:11], 2, v[10:11]
	s_delay_alu instid0(VALU_DEP_3) | instskip(NEXT) | instid1(VALU_DEP_2)
	v_sub_nc_u32_e32 v3, v0, v3
	v_add_co_u32 v0, s0, s4, v10
	s_wait_alu 0xf1ff
	s_delay_alu instid0(VALU_DEP_3) | instskip(NEXT) | instid1(VALU_DEP_3)
	v_add_co_ci_u32_e64 v9, s0, s5, v11, s0
	v_lshlrev_b32_e32 v10, 2, v3
	s_delay_alu instid0(VALU_DEP_3) | instskip(SKIP_1) | instid1(VALU_DEP_3)
	v_add_co_u32 v0, s0, v0, v7
	s_wait_alu 0xf1ff
	v_add_co_ci_u32_e64 v7, s0, v9, v8, s0
	s_delay_alu instid0(VALU_DEP_2) | instskip(SKIP_1) | instid1(VALU_DEP_2)
	v_add_co_u32 v8, s0, v0, v10
	s_wait_alu 0xf1ff
	v_add_co_ci_u32_e64 v9, s0, 0, v7, s0
	s_clause 0x9
	global_load_b32 v18, v[8:9], off
	global_load_b32 v16, v[8:9], off offset:88
	global_load_b32 v17, v[8:9], off offset:176
	global_load_b32 v15, v[8:9], off offset:264
	global_load_b32 v12, v[8:9], off offset:352
	global_load_b32 v14, v[8:9], off offset:440
	global_load_b32 v10, v[8:9], off offset:528
	global_load_b32 v13, v[8:9], off offset:616
	global_load_b32 v7, v[8:9], off offset:704
	global_load_b32 v11, v[8:9], off offset:792
.LBB0_12:
	s_or_b32 exec_lo, exec_lo, s1
	v_mul_hi_u32 v0, 0xcccccccd, v6
	s_wait_loadcnt 0x3
	v_add_f16_e32 v8, v12, v10
	v_lshrrev_b32_e32 v9, 16, v17
	s_wait_loadcnt 0x1
	v_lshrrev_b32_e32 v19, 16, v7
	v_lshrrev_b32_e32 v20, 16, v12
	;; [unrolled: 1-line block ×3, first 2 shown]
	v_fma_f16 v8, -0.5, v8, v18
	v_sub_f16_e32 v23, v7, v10
	v_lshrrev_b32_e32 v0, 2, v0
	v_sub_f16_e32 v22, v9, v19
	v_sub_f16_e32 v24, v17, v12
	v_add_f16_e32 v27, v17, v7
	v_sub_f16_e32 v25, v20, v21
	v_lshl_add_u32 v0, v0, 2, v0
	v_fmamk_f16 v26, v22, 0x3b9c, v8
	v_add_f16_e32 v23, v24, v23
	v_fma_f16 v24, -0.5, v27, v18
	v_fmac_f16_e32 v8, 0xbb9c, v22
	v_sub_nc_u32_e32 v0, v6, v0
	v_pk_add_f16 v6, v18, v17
	v_add_f16_e32 v27, v20, v21
	v_lshrrev_b32_e32 v18, 16, v18
	v_fmac_f16_e32 v26, 0x38b4, v25
	v_fmac_f16_e32 v8, 0xb8b4, v25
	v_sub_f16_e32 v29, v10, v7
	v_sub_f16_e32 v30, v12, v17
	v_fma_f16 v27, -0.5, v27, v18
	v_sub_f16_e32 v17, v17, v7
	v_fmac_f16_e32 v26, 0x34f2, v23
	v_fmamk_f16 v28, v25, 0xbb9c, v24
	v_fmac_f16_e32 v8, 0x34f2, v23
	v_add_f16_e32 v23, v30, v29
	v_fmac_f16_e32 v24, 0x3b9c, v25
	v_fmamk_f16 v25, v17, 0xbb9c, v27
	v_sub_f16_e32 v29, v12, v10
	v_sub_f16_e32 v30, v9, v20
	v_sub_f16_e32 v31, v19, v21
	v_fmac_f16_e32 v27, 0x3b9c, v17
	v_add_f16_e32 v32, v9, v19
	v_fmac_f16_e32 v28, 0x38b4, v22
	v_fmac_f16_e32 v24, 0xb8b4, v22
	;; [unrolled: 1-line block ×3, first 2 shown]
	v_add_f16_e32 v22, v30, v31
	v_fmac_f16_e32 v27, 0x38b4, v29
	v_fmac_f16_e32 v18, -0.5, v32
	v_sub_f16_e32 v9, v20, v9
	v_add_f16_e32 v20, v14, v13
	v_fmac_f16_e32 v25, 0x34f2, v22
	v_fmac_f16_e32 v27, 0x34f2, v22
	v_fmamk_f16 v22, v29, 0x3b9c, v18
	v_fmac_f16_e32 v18, 0xbb9c, v29
	v_lshrrev_b32_e32 v29, 16, v13
	s_wait_loadcnt 0x0
	v_add_f16_e32 v30, v15, v11
	v_fmac_f16_e32 v28, 0x34f2, v23
	v_fmac_f16_e32 v22, 0xb8b4, v17
	;; [unrolled: 1-line block ×3, first 2 shown]
	v_fma_f16 v17, -0.5, v20, v16
	v_lshrrev_b32_e32 v20, 16, v14
	v_fmac_f16_e32 v24, 0x34f2, v23
	v_sub_f16_e32 v19, v21, v19
	v_lshrrev_b32_e32 v21, 16, v15
	v_lshrrev_b32_e32 v23, 16, v11
	v_pk_add_f16 v32, v16, v15
	v_fma_f16 v30, -0.5, v30, v16
	v_add_f16_e32 v35, v20, v29
	v_lshrrev_b32_e32 v16, 16, v16
	v_sub_f16_e32 v36, v13, v11
	v_sub_f16_e32 v37, v14, v15
	;; [unrolled: 1-line block ×5, first 2 shown]
	v_fma_f16 v35, -0.5, v35, v16
	v_sub_f16_e32 v15, v15, v11
	v_add_f16_e32 v36, v37, v36
	v_add_f16_e32 v37, v21, v23
	;; [unrolled: 1-line block ×3, first 2 shown]
	v_sub_f16_e32 v19, v21, v23
	v_add_f16_e32 v33, v34, v33
	v_fmamk_f16 v34, v31, 0xbb9c, v30
	v_fmamk_f16 v38, v15, 0xbb9c, v35
	v_sub_f16_e32 v39, v14, v13
	v_fmac_f16_e32 v16, -0.5, v37
	v_fmac_f16_e32 v30, 0x3b9c, v31
	v_sub_f16_e32 v37, v21, v20
	v_sub_f16_e32 v40, v23, v29
	v_fmac_f16_e32 v22, 0x34f2, v9
	v_fmac_f16_e32 v18, 0x34f2, v9
	v_fmamk_f16 v9, v19, 0x3b9c, v17
	v_fmac_f16_e32 v38, 0xb8b4, v39
	v_fmamk_f16 v41, v39, 0x3b9c, v16
	v_sub_f16_e32 v20, v20, v21
	v_sub_f16_e32 v21, v29, v23
	v_fmac_f16_e32 v16, 0xbb9c, v39
	v_add_f16_e32 v23, v37, v40
	v_fmac_f16_e32 v30, 0xb8b4, v19
	v_fmac_f16_e32 v17, 0xbb9c, v19
	;; [unrolled: 1-line block ×5, first 2 shown]
	v_add_f16_e32 v19, v20, v21
	v_fmac_f16_e32 v16, 0x38b4, v15
	v_fmac_f16_e32 v38, 0x34f2, v23
	;; [unrolled: 1-line block ×8, first 2 shown]
	v_mul_f16_e32 v15, 0x38b4, v38
	v_mul_f16_e32 v20, 0x34f2, v30
	v_fmac_f16_e32 v34, 0x34f2, v36
	v_fmac_f16_e32 v17, 0x34f2, v33
	;; [unrolled: 1-line block ×3, first 2 shown]
	v_mul_u32_u24_e32 v0, 0xdc, v0
	v_fmac_f16_e32 v15, 0x3a79, v9
	v_fma_f16 v20, v16, 0x3b9c, -v20
	v_mul_f16_e32 v9, 0xb8b4, v9
	v_pk_add_f16 v6, v6, v12
	v_pk_add_f16 v12, v32, v14
	v_fmac_f16_e32 v41, 0x34f2, v19
	v_mul_f16_e32 v19, 0x34f2, v34
	v_mul_f16_e32 v33, 0xbb9c, v34
	;; [unrolled: 1-line block ×5, first 2 shown]
	v_add_f16_e32 v29, v24, v20
	v_fmac_f16_e32 v9, 0x3a79, v38
	v_sub_f16_e32 v14, v24, v20
	v_lshlrev_b32_e32 v20, 2, v0
	v_pk_add_f16 v0, v6, v10
	v_pk_add_f16 v6, v12, v13
	v_fmac_f16_e32 v19, 0x3b9c, v41
	v_fmac_f16_e32 v33, 0x34f2, v41
	v_fma_f16 v16, v30, 0xbb9c, -v16
	v_fma_f16 v31, v35, 0x38b4, -v31
	;; [unrolled: 1-line block ×3, first 2 shown]
	v_add_f16_e32 v21, v26, v15
	v_add_f16_e32 v34, v25, v9
	v_mul_u32_u24_e32 v10, 10, v3
	v_add_nc_u32_e32 v12, 0, v20
	v_pk_add_f16 v0, v0, v7
	v_pk_add_f16 v6, v6, v11
	v_add_f16_e32 v23, v28, v19
	v_add_f16_e32 v35, v22, v33
	;; [unrolled: 1-line block ×5, first 2 shown]
	v_sub_f16_e32 v15, v26, v15
	v_sub_f16_e32 v19, v28, v19
	;; [unrolled: 1-line block ×7, first 2 shown]
	v_lshl_add_u32 v10, v10, 2, v12
	v_pk_add_f16 v16, v0, v6
	v_pack_b32_f16 v17, v21, v34
	v_pack_b32_f16 v18, v23, v35
	;; [unrolled: 1-line block ×3, first 2 shown]
	v_pk_add_f16 v0, v0, v6 neg_lo:[0,1] neg_hi:[0,1]
	v_pack_b32_f16 v6, v30, v37
	v_pack_b32_f16 v7, v19, v7
	;; [unrolled: 1-line block ×5, first 2 shown]
	s_load_b64 s[2:3], s[2:3], 0x0
	ds_store_2addr_b32 v10, v16, v17 offset1:1
	ds_store_2addr_b32 v10, v18, v21 offset0:2 offset1:3
	ds_store_2addr_b32 v10, v6, v0 offset0:4 offset1:5
	;; [unrolled: 1-line block ×4, first 2 shown]
	v_add_nc_u16 v0, v3, 0x58
	v_add_nc_u16 v6, v3, 0x42
	;; [unrolled: 1-line block ×4, first 2 shown]
	v_and_b32_e32 v15, 0xff, v3
	v_and_b32_e32 v9, 0xff, v0
	;; [unrolled: 1-line block ×5, first 2 shown]
	v_mul_lo_u16 v15, 0xcd, v15
	v_mul_lo_u16 v9, 0xcd, v9
	;; [unrolled: 1-line block ×5, first 2 shown]
	global_wb scope:SCOPE_SE
	s_wait_dscnt 0x0
	v_lshrrev_b16 v9, 11, v9
	v_lshrrev_b16 v16, 11, v11
	;; [unrolled: 1-line block ×5, first 2 shown]
	v_mul_lo_u16 v15, v9, 10
	v_mul_lo_u16 v17, v16, 10
	;; [unrolled: 1-line block ×5, first 2 shown]
	v_sub_nc_u16 v0, v0, v15
	v_sub_nc_u16 v6, v6, v17
	;; [unrolled: 1-line block ×5, first 2 shown]
	v_and_b32_e32 v0, 0xff, v0
	v_and_b32_e32 v6, 0xff, v6
	;; [unrolled: 1-line block ×5, first 2 shown]
	v_lshlrev_b32_e32 v17, 2, v0
	v_lshlrev_b32_e32 v18, 2, v6
	;; [unrolled: 1-line block ×5, first 2 shown]
	s_wait_kmcnt 0x0
	s_barrier_signal -1
	s_barrier_wait -1
	global_inv scope:SCOPE_SE
	s_clause 0x4
	global_load_b32 v22, v17, s[8:9]
	global_load_b32 v23, v18, s[8:9]
	global_load_b32 v24, v19, s[8:9]
	global_load_b32 v25, v21, s[8:9]
	global_load_b32 v26, v15, s[8:9]
	v_and_b32_e32 v27, 0xffff, v11
	v_lshl_add_u32 v11, v3, 2, v12
	v_mad_i32_i24 v0, 0xffffffdc, v3, v10
	v_and_b32_e32 v10, 0xffff, v14
	v_and_b32_e32 v12, 0xffff, v13
	;; [unrolled: 1-line block ×3, first 2 shown]
	ds_load_b32 v28, v11
	ds_load_b32 v14, v0 offset:792
	ds_load_2addr_b32 v[6:7], v0 offset0:154 offset1:176
	v_and_b32_e32 v16, 0xffff, v9
	ds_load_2addr_b32 v[8:9], v0 offset0:110 offset1:132
	v_mad_u32_u24 v27, 0x50, v27, 0
	v_mad_u32_u24 v13, 0x50, v13, 0
	v_mad_u32_u24 v10, 0x50, v10, 0
	v_mad_u32_u24 v16, 0x50, v16, 0
	v_mad_u32_u24 v12, 0x50, v12, 0
	v_add3_u32 v27, v27, v15, v20
	v_add3_u32 v29, v13, v18, v20
	v_add3_u32 v21, v10, v21, v20
	v_add3_u32 v30, v16, v17, v20
	ds_load_2addr_b32 v[15:16], v0 offset0:22 offset1:44
	ds_load_2addr_b32 v[17:18], v0 offset0:66 offset1:88
	v_add3_u32 v19, v12, v19, v20
	v_cmp_gt_u32_e64 s0, 20, v3
	global_wb scope:SCOPE_SE
	s_wait_loadcnt_dscnt 0x0
	s_barrier_signal -1
	s_barrier_wait -1
	global_inv scope:SCOPE_SE
	v_pk_mul_f16 v10, v22, v14 op_sel:[0,1]
	v_pk_mul_f16 v12, v23, v7 op_sel:[0,1]
	;; [unrolled: 1-line block ×5, first 2 shown]
	v_pk_fma_f16 v32, v22, v14, v10 op_sel:[0,0,1] op_sel_hi:[1,1,0] neg_lo:[0,0,1] neg_hi:[0,0,1]
	v_pk_fma_f16 v10, v22, v14, v10 op_sel:[0,0,1] op_sel_hi:[1,0,0]
	v_pk_fma_f16 v14, v23, v7, v12 op_sel:[0,0,1] op_sel_hi:[1,1,0] neg_lo:[0,0,1] neg_hi:[0,0,1]
	v_pk_fma_f16 v7, v23, v7, v12 op_sel:[0,0,1] op_sel_hi:[1,0,0]
	;; [unrolled: 2-line block ×5, first 2 shown]
	v_bfi_b32 v10, 0xffff, v32, v10
	v_bfi_b32 v7, 0xffff, v14, v7
	;; [unrolled: 1-line block ×5, first 2 shown]
	v_pk_add_f16 v10, v18, v10 neg_lo:[0,1] neg_hi:[0,1]
	v_pk_add_f16 v6, v17, v7 neg_lo:[0,1] neg_hi:[0,1]
	;; [unrolled: 1-line block ×5, first 2 shown]
	v_pk_fma_f16 v7, v18, 2.0, v10 op_sel_hi:[1,0,1] neg_lo:[0,0,1] neg_hi:[0,0,1]
	v_pk_fma_f16 v9, v17, 2.0, v6 op_sel_hi:[1,0,1] neg_lo:[0,0,1] neg_hi:[0,0,1]
	;; [unrolled: 1-line block ×5, first 2 shown]
	v_lshrrev_b32_e32 v20, 16, v10
	v_lshrrev_b32_e32 v24, 16, v6
	;; [unrolled: 1-line block ×4, first 2 shown]
	ds_store_2addr_b32 v27, v17, v14 offset1:10
	ds_store_2addr_b32 v21, v15, v12 offset1:10
	;; [unrolled: 1-line block ×5, first 2 shown]
	v_lshrrev_b32_e32 v22, 16, v7
	v_lshrrev_b32_e32 v27, 16, v9
	v_lshrrev_b32_e32 v28, 16, v13
	v_lshrrev_b32_e32 v29, 16, v15
	v_lshrrev_b32_e32 v16, 16, v17
	v_lshrrev_b32_e32 v30, 16, v14
	global_wb scope:SCOPE_SE
	s_wait_dscnt 0x0
	s_barrier_signal -1
	s_barrier_wait -1
	global_inv scope:SCOPE_SE
                                        ; implicit-def: $vgpr31
	s_and_saveexec_b32 s1, s0
	s_cbranch_execz .LBB0_14
; %bb.13:
	ds_load_b32 v17, v11
	ds_load_2addr_b32 v[6:7], v0 offset0:140 offset1:160
	ds_load_2addr_b32 v[10:11], v0 offset0:180 offset1:200
	;; [unrolled: 1-line block ×5, first 2 shown]
	s_wait_dscnt 0x5
	v_lshrrev_b32_e32 v16, 16, v17
	s_wait_dscnt 0x4
	v_lshrrev_b32_e32 v22, 16, v7
	;; [unrolled: 2-line block ×3, first 2 shown]
	v_lshrrev_b32_e32 v31, 16, v11
	s_wait_dscnt 0x2
	v_lshrrev_b32_e32 v30, 16, v14
	v_lshrrev_b32_e32 v29, 16, v15
	s_wait_dscnt 0x1
	v_lshrrev_b32_e32 v25, 16, v12
	;; [unrolled: 3-line block ×3, first 2 shown]
	v_lshrrev_b32_e32 v27, 16, v9
	v_lshrrev_b32_e32 v24, 16, v6
.LBB0_14:
	s_wait_alu 0xfffe
	s_or_b32 exec_lo, exec_lo, s1
	v_cmp_gt_u32_e64 s1, 20, v3
	s_delay_alu instid0(VALU_DEP_1)
	s_and_b32 s1, vcc_lo, s1
	s_wait_alu 0xfffe
	s_and_saveexec_b32 s4, s1
	s_cbranch_execz .LBB0_16
; %bb.15:
	v_subrev_nc_u32_e32 v0, 20, v3
	v_mov_b32_e32 v19, 0
	s_delay_alu instid0(VALU_DEP_2) | instskip(NEXT) | instid1(VALU_DEP_1)
	v_cndmask_b32_e64 v0, v0, v3, s0
	v_mul_i32_i24_e32 v18, 10, v0
	v_mul_lo_u32 v0, s3, v4
	s_delay_alu instid0(VALU_DEP_2) | instskip(SKIP_2) | instid1(VALU_DEP_3)
	v_lshlrev_b64_e32 v[32:33], 2, v[18:19]
	v_mul_lo_u32 v18, s2, v5
	v_mad_co_u64_u32 v[4:5], null, s2, v4, 0
	v_add_co_u32 v36, vcc_lo, s8, v32
	s_wait_alu 0xfffd
	s_delay_alu instid0(VALU_DEP_4) | instskip(NEXT) | instid1(VALU_DEP_3)
	v_add_co_ci_u32_e32 v37, vcc_lo, s9, v33, vcc_lo
	v_add3_u32 v5, v5, v18, v0
	v_lshlrev_b64_e32 v[0:1], 2, v[1:2]
	s_clause 0x2
	global_load_b64 v[40:41], v[36:37], off offset:72
	global_load_b128 v[32:35], v[36:37], off offset:40
	global_load_b128 v[36:39], v[36:37], off offset:56
	v_lshlrev_b64_e32 v[42:43], 2, v[4:5]
	v_mov_b32_e32 v4, v19
	s_delay_alu instid0(VALU_DEP_1) | instskip(NEXT) | instid1(VALU_DEP_3)
	v_lshlrev_b64_e32 v[2:3], 2, v[3:4]
	v_add_co_u32 v5, vcc_lo, s6, v42
	s_wait_alu 0xfffd
	s_delay_alu instid0(VALU_DEP_4) | instskip(NEXT) | instid1(VALU_DEP_2)
	v_add_co_ci_u32_e32 v18, vcc_lo, s7, v43, vcc_lo
	v_add_co_u32 v0, vcc_lo, v5, v0
	s_wait_alu 0xfffd
	s_delay_alu instid0(VALU_DEP_2) | instskip(NEXT) | instid1(VALU_DEP_2)
	v_add_co_ci_u32_e32 v1, vcc_lo, v18, v1, vcc_lo
	v_add_co_u32 v0, vcc_lo, v0, v2
	s_wait_alu 0xfffd
	s_delay_alu instid0(VALU_DEP_2)
	v_add_co_ci_u32_e32 v1, vcc_lo, v1, v3, vcc_lo
	s_wait_loadcnt 0x2
	v_lshrrev_b32_e32 v5, 16, v41
	v_mul_f16_e32 v2, v31, v41
	s_wait_loadcnt 0x1
	v_lshrrev_b32_e32 v42, 16, v32
	v_lshrrev_b32_e32 v3, 16, v40
	;; [unrolled: 1-line block ×4, first 2 shown]
	v_mul_f16_e32 v46, v30, v32
	v_mul_f16_e32 v4, v20, v40
	s_wait_loadcnt 0x0
	v_lshrrev_b32_e32 v50, 16, v38
	v_fmac_f16_e32 v2, v11, v5
	v_mul_f16_e32 v30, v30, v42
	v_mul_f16_e32 v5, v31, v5
	v_lshrrev_b32_e32 v44, 16, v34
	v_mul_f16_e32 v47, v29, v33
	v_lshrrev_b32_e32 v48, 16, v36
	v_lshrrev_b32_e32 v49, 16, v37
	;; [unrolled: 1-line block ×3, first 2 shown]
	v_mul_f16_e32 v18, v22, v39
	v_mul_f16_e32 v52, v25, v34
	;; [unrolled: 1-line block ×6, first 2 shown]
	v_fmac_f16_e32 v46, v14, v42
	v_fmac_f16_e32 v4, v10, v3
	v_mul_f16_e32 v29, v29, v43
	v_mul_f16_e32 v20, v20, v3
	;; [unrolled: 1-line block ×4, first 2 shown]
	v_fma_f16 v14, v14, v32, -v30
	v_fma_f16 v3, v11, v41, -v5
	v_fmac_f16_e32 v47, v15, v43
	v_fmac_f16_e32 v18, v7, v51
	;; [unrolled: 1-line block ×3, first 2 shown]
	v_mul_f16_e32 v25, v25, v44
	v_mul_f16_e32 v22, v22, v51
	v_fmac_f16_e32 v19, v6, v50
	v_fmac_f16_e32 v53, v13, v45
	;; [unrolled: 1-line block ×4, first 2 shown]
	v_mul_f16_e32 v23, v23, v48
	v_mul_f16_e32 v27, v27, v49
	v_fma_f16 v15, v15, v33, -v29
	v_fma_f16 v11, v13, v35, -v28
	;; [unrolled: 1-line block ×3, first 2 shown]
	v_add_f16_e32 v24, v16, v46
	v_sub_f16_e32 v32, v14, v3
	v_add_f16_e32 v35, v3, v14
	v_add_f16_e32 v14, v17, v14
	;; [unrolled: 1-line block ×4, first 2 shown]
	v_fma_f16 v5, v10, v40, -v20
	v_fma_f16 v12, v12, v34, -v25
	;; [unrolled: 1-line block ×5, first 2 shown]
	v_sub_f16_e32 v9, v46, v2
	v_sub_f16_e32 v13, v47, v4
	;; [unrolled: 1-line block ×5, first 2 shown]
	v_add_f16_e32 v27, v19, v53
	v_add_f16_e32 v24, v24, v47
	;; [unrolled: 1-line block ×5, first 2 shown]
	v_mul_f16_e32 v29, 0x36a6, v31
	v_mul_f16_e32 v33, 0xb93d, v30
	v_sub_f16_e32 v34, v15, v5
	v_mul_f16_e32 v36, 0xbb47, v9
	v_add_f16_e32 v37, v5, v15
	v_mul_f16_e32 v38, 0xba0c, v13
	v_add_f16_e32 v39, v7, v12
	;; [unrolled: 2-line block ×4, first 2 shown]
	v_mul_f16_e32 v44, 0x3853, v23
	v_mul_f16_e32 v45, 0xb08e, v31
	;; [unrolled: 1-line block ×27, first 2 shown]
	v_sub_f16_e32 v47, v12, v7
	v_sub_f16_e32 v73, v11, v6
	v_mul_f16_e32 v74, 0x36a6, v27
	v_mul_f16_e32 v75, 0xbbad, v27
	;; [unrolled: 1-line block ×4, first 2 shown]
	v_add_f16_e32 v24, v24, v52
	v_add_f16_e32 v12, v14, v12
	v_mul_f16_e32 v69, 0xb93d, v25
	v_mul_f16_e32 v70, 0x3abb, v25
	;; [unrolled: 1-line block ×4, first 2 shown]
	v_sub_f16_e32 v78, v10, v8
	v_mul_f16_e32 v79, 0xb08e, v28
	v_mul_f16_e32 v80, 0x36a6, v28
	v_mul_f16_e32 v81, 0xb93d, v28
	v_mul_f16_e32 v82, 0x3abb, v28
	v_fmamk_f16 v83, v32, 0x3b47, v29
	v_fmamk_f16 v84, v34, 0x3a0c, v33
	;; [unrolled: 1-line block ×27, first 2 shown]
	v_fmac_f16_e32 v62, 0xb482, v32
	v_fma_f16 v64, v35, 0xbbad, -v64
	v_fma_f16 v65, v37, 0x3abb, -v65
	v_fma_f16 v66, v39, 0xb93d, -v66
	v_fma_f16 v67, v41, 0x36a6, -v67
	v_fma_f16 v68, v43, 0xb08e, -v68
	v_fmac_f16_e32 v55, 0xba0c, v32
	v_fma_f16 v57, v35, 0xb93d, -v57
	v_fma_f16 v58, v37, 0xb08e, -v58
	v_fma_f16 v59, v39, 0x3abb, -v59
	v_fma_f16 v60, v41, 0xbbad, -v60
	v_fma_f16 v61, v43, 0x36a6, -v61
	;; [unrolled: 6-line block ×4, first 2 shown]
	v_mul_f16_e32 v32, 0xb853, v32
	v_fma_f16 v15, v35, 0x3abb, -v9
	v_fmac_f16_e32 v9, 0x3abb, v35
	v_fma_f16 v35, v37, 0x36a6, -v13
	v_fmac_f16_e32 v13, 0x36a6, v37
	;; [unrolled: 2-line block ×5, first 2 shown]
	v_fmamk_f16 v43, v34, 0xb853, v63
	v_fmac_f16_e32 v63, 0x3853, v34
	v_fmac_f16_e32 v56, 0x3beb, v34
	;; [unrolled: 1-line block ×4, first 2 shown]
	v_mul_f16_e32 v34, 0xbb47, v34
	v_fmamk_f16 v113, v73, 0xbb47, v74
	v_fmac_f16_e32 v74, 0x3b47, v73
	v_fmamk_f16 v114, v73, 0x3482, v75
	v_fmac_f16_e32 v75, 0xb482, v73
	;; [unrolled: 2-line block ×4, first 2 shown]
	v_mul_f16_e32 v73, 0xba0c, v73
	v_add_f16_e32 v24, v24, v53
	v_add_f16_e32 v11, v12, v11
	v_fmamk_f16 v52, v47, 0x3a0c, v69
	v_fmac_f16_e32 v69, 0xba0c, v47
	v_fmamk_f16 v110, v47, 0x3853, v70
	v_fmac_f16_e32 v70, 0xb853, v47
	;; [unrolled: 2-line block ×4, first 2 shown]
	v_mul_f16_e32 v47, 0xbbeb, v47
	v_fmamk_f16 v117, v78, 0x3beb, v79
	v_fmac_f16_e32 v79, 0xbbeb, v78
	v_fmamk_f16 v118, v78, 0xbb47, v80
	v_fmac_f16_e32 v80, 0x3b47, v78
	;; [unrolled: 2-line block ×4, first 2 shown]
	v_mul_f16_e32 v78, 0xb482, v78
	v_fmamk_f16 v121, v31, 0x3abb, v32
	v_fma_f16 v31, v31, 0x3abb, -v32
	v_fmamk_f16 v32, v30, 0x36a6, v34
	v_fma_f16 v30, v30, 0x36a6, -v34
	;; [unrolled: 2-line block ×3, first 2 shown]
	v_add_f16_e32 v53, v17, v85
	v_add_f16_e32 v73, v17, v92
	;; [unrolled: 1-line block ×9, first 2 shown]
	v_fmamk_f16 v14, v25, 0xb08e, v47
	v_fma_f16 v25, v25, 0xb08e, -v47
	v_fmamk_f16 v47, v28, 0xbbad, v78
	v_fma_f16 v28, v28, 0xbbad, -v78
	v_add_f16_e32 v78, v17, v99
	v_add_f16_e32 v64, v17, v64
	;; [unrolled: 1-line block ×101, first 2 shown]
	v_pack_b32_f16 v11, v32, v31
	v_add_f16_e32 v2, v2, v4
	v_add_f16_e32 v3, v3, v5
	v_pack_b32_f16 v14, v30, v26
	v_pack_b32_f16 v6, v25, v24
	;; [unrolled: 1-line block ×10, first 2 shown]
	s_clause 0xa
	global_store_b32 v[0:1], v11, off offset:240
	global_store_b32 v[0:1], v14, off offset:320
	;; [unrolled: 1-line block ×7, first 2 shown]
	global_store_b32 v[0:1], v2, off
	global_store_b32 v[0:1], v4, off offset:640
	global_store_b32 v[0:1], v5, off offset:720
	;; [unrolled: 1-line block ×3, first 2 shown]
.LBB0_16:
	s_nop 0
	s_sendmsg sendmsg(MSG_DEALLOC_VGPRS)
	s_endpgm
	.section	.rodata,"a",@progbits
	.p2align	6, 0x0
	.amdhsa_kernel fft_rtc_fwd_len220_factors_10_2_11_wgs_110_tpt_22_half_op_CI_CI_unitstride_sbrr_dirReg
		.amdhsa_group_segment_fixed_size 0
		.amdhsa_private_segment_fixed_size 0
		.amdhsa_kernarg_size 104
		.amdhsa_user_sgpr_count 2
		.amdhsa_user_sgpr_dispatch_ptr 0
		.amdhsa_user_sgpr_queue_ptr 0
		.amdhsa_user_sgpr_kernarg_segment_ptr 1
		.amdhsa_user_sgpr_dispatch_id 0
		.amdhsa_user_sgpr_private_segment_size 0
		.amdhsa_wavefront_size32 1
		.amdhsa_uses_dynamic_stack 0
		.amdhsa_enable_private_segment 0
		.amdhsa_system_sgpr_workgroup_id_x 1
		.amdhsa_system_sgpr_workgroup_id_y 0
		.amdhsa_system_sgpr_workgroup_id_z 0
		.amdhsa_system_sgpr_workgroup_info 0
		.amdhsa_system_vgpr_workitem_id 0
		.amdhsa_next_free_vgpr 122
		.amdhsa_next_free_sgpr 39
		.amdhsa_reserve_vcc 1
		.amdhsa_float_round_mode_32 0
		.amdhsa_float_round_mode_16_64 0
		.amdhsa_float_denorm_mode_32 3
		.amdhsa_float_denorm_mode_16_64 3
		.amdhsa_fp16_overflow 0
		.amdhsa_workgroup_processor_mode 1
		.amdhsa_memory_ordered 1
		.amdhsa_forward_progress 0
		.amdhsa_round_robin_scheduling 0
		.amdhsa_exception_fp_ieee_invalid_op 0
		.amdhsa_exception_fp_denorm_src 0
		.amdhsa_exception_fp_ieee_div_zero 0
		.amdhsa_exception_fp_ieee_overflow 0
		.amdhsa_exception_fp_ieee_underflow 0
		.amdhsa_exception_fp_ieee_inexact 0
		.amdhsa_exception_int_div_zero 0
	.end_amdhsa_kernel
	.text
.Lfunc_end0:
	.size	fft_rtc_fwd_len220_factors_10_2_11_wgs_110_tpt_22_half_op_CI_CI_unitstride_sbrr_dirReg, .Lfunc_end0-fft_rtc_fwd_len220_factors_10_2_11_wgs_110_tpt_22_half_op_CI_CI_unitstride_sbrr_dirReg
                                        ; -- End function
	.section	.AMDGPU.csdata,"",@progbits
; Kernel info:
; codeLenInByte = 6508
; NumSgprs: 41
; NumVgprs: 122
; ScratchSize: 0
; MemoryBound: 0
; FloatMode: 240
; IeeeMode: 1
; LDSByteSize: 0 bytes/workgroup (compile time only)
; SGPRBlocks: 5
; VGPRBlocks: 15
; NumSGPRsForWavesPerEU: 41
; NumVGPRsForWavesPerEU: 122
; Occupancy: 10
; WaveLimiterHint : 1
; COMPUTE_PGM_RSRC2:SCRATCH_EN: 0
; COMPUTE_PGM_RSRC2:USER_SGPR: 2
; COMPUTE_PGM_RSRC2:TRAP_HANDLER: 0
; COMPUTE_PGM_RSRC2:TGID_X_EN: 1
; COMPUTE_PGM_RSRC2:TGID_Y_EN: 0
; COMPUTE_PGM_RSRC2:TGID_Z_EN: 0
; COMPUTE_PGM_RSRC2:TIDIG_COMP_CNT: 0
	.text
	.p2alignl 7, 3214868480
	.fill 96, 4, 3214868480
	.type	__hip_cuid_11961a24f246d5d,@object ; @__hip_cuid_11961a24f246d5d
	.section	.bss,"aw",@nobits
	.globl	__hip_cuid_11961a24f246d5d
__hip_cuid_11961a24f246d5d:
	.byte	0                               ; 0x0
	.size	__hip_cuid_11961a24f246d5d, 1

	.ident	"AMD clang version 19.0.0git (https://github.com/RadeonOpenCompute/llvm-project roc-6.4.0 25133 c7fe45cf4b819c5991fe208aaa96edf142730f1d)"
	.section	".note.GNU-stack","",@progbits
	.addrsig
	.addrsig_sym __hip_cuid_11961a24f246d5d
	.amdgpu_metadata
---
amdhsa.kernels:
  - .args:
      - .actual_access:  read_only
        .address_space:  global
        .offset:         0
        .size:           8
        .value_kind:     global_buffer
      - .offset:         8
        .size:           8
        .value_kind:     by_value
      - .actual_access:  read_only
        .address_space:  global
        .offset:         16
        .size:           8
        .value_kind:     global_buffer
      - .actual_access:  read_only
        .address_space:  global
        .offset:         24
        .size:           8
        .value_kind:     global_buffer
      - .actual_access:  read_only
        .address_space:  global
        .offset:         32
        .size:           8
        .value_kind:     global_buffer
      - .offset:         40
        .size:           8
        .value_kind:     by_value
      - .actual_access:  read_only
        .address_space:  global
        .offset:         48
        .size:           8
        .value_kind:     global_buffer
      - .actual_access:  read_only
        .address_space:  global
        .offset:         56
        .size:           8
        .value_kind:     global_buffer
      - .offset:         64
        .size:           4
        .value_kind:     by_value
      - .actual_access:  read_only
        .address_space:  global
        .offset:         72
        .size:           8
        .value_kind:     global_buffer
      - .actual_access:  read_only
        .address_space:  global
        .offset:         80
        .size:           8
        .value_kind:     global_buffer
      - .actual_access:  read_only
        .address_space:  global
        .offset:         88
        .size:           8
        .value_kind:     global_buffer
      - .actual_access:  write_only
        .address_space:  global
        .offset:         96
        .size:           8
        .value_kind:     global_buffer
    .group_segment_fixed_size: 0
    .kernarg_segment_align: 8
    .kernarg_segment_size: 104
    .language:       OpenCL C
    .language_version:
      - 2
      - 0
    .max_flat_workgroup_size: 110
    .name:           fft_rtc_fwd_len220_factors_10_2_11_wgs_110_tpt_22_half_op_CI_CI_unitstride_sbrr_dirReg
    .private_segment_fixed_size: 0
    .sgpr_count:     41
    .sgpr_spill_count: 0
    .symbol:         fft_rtc_fwd_len220_factors_10_2_11_wgs_110_tpt_22_half_op_CI_CI_unitstride_sbrr_dirReg.kd
    .uniform_work_group_size: 1
    .uses_dynamic_stack: false
    .vgpr_count:     122
    .vgpr_spill_count: 0
    .wavefront_size: 32
    .workgroup_processor_mode: 1
amdhsa.target:   amdgcn-amd-amdhsa--gfx1201
amdhsa.version:
  - 1
  - 2
...

	.end_amdgpu_metadata
